;; amdgpu-corpus repo=ROCm/rocFFT kind=compiled arch=gfx906 opt=O3
	.text
	.amdgcn_target "amdgcn-amd-amdhsa--gfx906"
	.amdhsa_code_object_version 6
	.protected	fft_rtc_back_len770_factors_11_10_7_wgs_220_tpt_110_sp_op_CI_CI_unitstride_sbrr_C2R_dirReg ; -- Begin function fft_rtc_back_len770_factors_11_10_7_wgs_220_tpt_110_sp_op_CI_CI_unitstride_sbrr_C2R_dirReg
	.globl	fft_rtc_back_len770_factors_11_10_7_wgs_220_tpt_110_sp_op_CI_CI_unitstride_sbrr_C2R_dirReg
	.p2align	8
	.type	fft_rtc_back_len770_factors_11_10_7_wgs_220_tpt_110_sp_op_CI_CI_unitstride_sbrr_C2R_dirReg,@function
fft_rtc_back_len770_factors_11_10_7_wgs_220_tpt_110_sp_op_CI_CI_unitstride_sbrr_C2R_dirReg: ; @fft_rtc_back_len770_factors_11_10_7_wgs_220_tpt_110_sp_op_CI_CI_unitstride_sbrr_C2R_dirReg
; %bb.0:
	s_load_dwordx4 s[8:11], s[4:5], 0x58
	s_load_dwordx4 s[12:15], s[4:5], 0x0
	;; [unrolled: 1-line block ×3, first 2 shown]
	v_mul_u32_u24_e32 v1, 0x254, v0
	v_lshrrev_b32_e32 v7, 16, v1
	v_mov_b32_e32 v3, 0
	s_waitcnt lgkmcnt(0)
	v_cmp_lt_u64_e64 s[0:1], s[14:15], 2
	v_mov_b32_e32 v1, 0
	v_lshl_add_u32 v5, s6, 1, v7
	v_mov_b32_e32 v6, v3
	s_and_b64 vcc, exec, s[0:1]
	v_mov_b32_e32 v2, 0
	s_cbranch_vccnz .LBB0_8
; %bb.1:
	s_load_dwordx2 s[0:1], s[4:5], 0x10
	s_add_u32 s2, s18, 8
	s_addc_u32 s3, s19, 0
	s_add_u32 s6, s16, 8
	v_mov_b32_e32 v1, 0
	s_addc_u32 s7, s17, 0
	v_mov_b32_e32 v2, 0
	s_waitcnt lgkmcnt(0)
	s_add_u32 s20, s0, 8
	v_mov_b32_e32 v13, v2
	s_addc_u32 s21, s1, 0
	s_mov_b64 s[22:23], 1
	v_mov_b32_e32 v12, v1
.LBB0_2:                                ; =>This Inner Loop Header: Depth=1
	s_load_dwordx2 s[24:25], s[20:21], 0x0
                                        ; implicit-def: $vgpr14_vgpr15
	s_waitcnt lgkmcnt(0)
	v_or_b32_e32 v4, s25, v6
	v_cmp_ne_u64_e32 vcc, 0, v[3:4]
	s_and_saveexec_b64 s[0:1], vcc
	s_xor_b64 s[26:27], exec, s[0:1]
	s_cbranch_execz .LBB0_4
; %bb.3:                                ;   in Loop: Header=BB0_2 Depth=1
	v_cvt_f32_u32_e32 v4, s24
	v_cvt_f32_u32_e32 v8, s25
	s_sub_u32 s0, 0, s24
	s_subb_u32 s1, 0, s25
	v_mac_f32_e32 v4, 0x4f800000, v8
	v_rcp_f32_e32 v4, v4
	v_mul_f32_e32 v4, 0x5f7ffffc, v4
	v_mul_f32_e32 v8, 0x2f800000, v4
	v_trunc_f32_e32 v8, v8
	v_mac_f32_e32 v4, 0xcf800000, v8
	v_cvt_u32_f32_e32 v8, v8
	v_cvt_u32_f32_e32 v4, v4
	v_mul_lo_u32 v9, s0, v8
	v_mul_hi_u32 v10, s0, v4
	v_mul_lo_u32 v14, s1, v4
	v_mul_lo_u32 v11, s0, v4
	v_add_u32_e32 v9, v10, v9
	v_add_u32_e32 v9, v9, v14
	v_mul_hi_u32 v10, v4, v11
	v_mul_lo_u32 v14, v4, v9
	v_mul_hi_u32 v16, v4, v9
	v_mul_hi_u32 v15, v8, v11
	v_mul_lo_u32 v11, v8, v11
	v_mul_hi_u32 v17, v8, v9
	v_add_co_u32_e32 v10, vcc, v10, v14
	v_addc_co_u32_e32 v14, vcc, 0, v16, vcc
	v_mul_lo_u32 v9, v8, v9
	v_add_co_u32_e32 v10, vcc, v10, v11
	v_addc_co_u32_e32 v10, vcc, v14, v15, vcc
	v_addc_co_u32_e32 v11, vcc, 0, v17, vcc
	v_add_co_u32_e32 v9, vcc, v10, v9
	v_addc_co_u32_e32 v10, vcc, 0, v11, vcc
	v_add_co_u32_e32 v4, vcc, v4, v9
	v_addc_co_u32_e32 v8, vcc, v8, v10, vcc
	v_mul_lo_u32 v9, s0, v8
	v_mul_hi_u32 v10, s0, v4
	v_mul_lo_u32 v11, s1, v4
	v_mul_lo_u32 v14, s0, v4
	v_add_u32_e32 v9, v10, v9
	v_add_u32_e32 v9, v9, v11
	v_mul_lo_u32 v15, v4, v9
	v_mul_hi_u32 v16, v4, v14
	v_mul_hi_u32 v17, v4, v9
	;; [unrolled: 1-line block ×3, first 2 shown]
	v_mul_lo_u32 v14, v8, v14
	v_mul_hi_u32 v10, v8, v9
	v_add_co_u32_e32 v15, vcc, v16, v15
	v_addc_co_u32_e32 v16, vcc, 0, v17, vcc
	v_mul_lo_u32 v9, v8, v9
	v_add_co_u32_e32 v14, vcc, v15, v14
	v_addc_co_u32_e32 v11, vcc, v16, v11, vcc
	v_addc_co_u32_e32 v10, vcc, 0, v10, vcc
	v_add_co_u32_e32 v9, vcc, v11, v9
	v_addc_co_u32_e32 v10, vcc, 0, v10, vcc
	v_add_co_u32_e32 v4, vcc, v4, v9
	v_addc_co_u32_e32 v10, vcc, v8, v10, vcc
	v_mad_u64_u32 v[8:9], s[0:1], v5, v10, 0
	v_mul_hi_u32 v11, v5, v4
	v_add_co_u32_e32 v14, vcc, v11, v8
	v_addc_co_u32_e32 v15, vcc, 0, v9, vcc
	v_mad_u64_u32 v[8:9], s[0:1], v6, v4, 0
	v_mad_u64_u32 v[10:11], s[0:1], v6, v10, 0
	v_add_co_u32_e32 v4, vcc, v14, v8
	v_addc_co_u32_e32 v4, vcc, v15, v9, vcc
	v_addc_co_u32_e32 v8, vcc, 0, v11, vcc
	v_add_co_u32_e32 v4, vcc, v4, v10
	v_addc_co_u32_e32 v10, vcc, 0, v8, vcc
	v_mul_lo_u32 v11, s25, v4
	v_mul_lo_u32 v14, s24, v10
	v_mad_u64_u32 v[8:9], s[0:1], s24, v4, 0
	v_add3_u32 v9, v9, v14, v11
	v_sub_u32_e32 v11, v6, v9
	v_mov_b32_e32 v14, s25
	v_sub_co_u32_e32 v8, vcc, v5, v8
	v_subb_co_u32_e64 v11, s[0:1], v11, v14, vcc
	v_subrev_co_u32_e64 v14, s[0:1], s24, v8
	v_subbrev_co_u32_e64 v11, s[0:1], 0, v11, s[0:1]
	v_cmp_le_u32_e64 s[0:1], s25, v11
	v_cndmask_b32_e64 v15, 0, -1, s[0:1]
	v_cmp_le_u32_e64 s[0:1], s24, v14
	v_cndmask_b32_e64 v14, 0, -1, s[0:1]
	v_cmp_eq_u32_e64 s[0:1], s25, v11
	v_cndmask_b32_e64 v11, v15, v14, s[0:1]
	v_add_co_u32_e64 v14, s[0:1], 2, v4
	v_addc_co_u32_e64 v15, s[0:1], 0, v10, s[0:1]
	v_add_co_u32_e64 v16, s[0:1], 1, v4
	v_addc_co_u32_e64 v17, s[0:1], 0, v10, s[0:1]
	v_subb_co_u32_e32 v9, vcc, v6, v9, vcc
	v_cmp_ne_u32_e64 s[0:1], 0, v11
	v_cmp_le_u32_e32 vcc, s25, v9
	v_cndmask_b32_e64 v11, v17, v15, s[0:1]
	v_cndmask_b32_e64 v15, 0, -1, vcc
	v_cmp_le_u32_e32 vcc, s24, v8
	v_cndmask_b32_e64 v8, 0, -1, vcc
	v_cmp_eq_u32_e32 vcc, s25, v9
	v_cndmask_b32_e32 v8, v15, v8, vcc
	v_cmp_ne_u32_e32 vcc, 0, v8
	v_cndmask_b32_e64 v8, v16, v14, s[0:1]
	v_cndmask_b32_e32 v15, v10, v11, vcc
	v_cndmask_b32_e32 v14, v4, v8, vcc
.LBB0_4:                                ;   in Loop: Header=BB0_2 Depth=1
	s_andn2_saveexec_b64 s[0:1], s[26:27]
	s_cbranch_execz .LBB0_6
; %bb.5:                                ;   in Loop: Header=BB0_2 Depth=1
	v_cvt_f32_u32_e32 v4, s24
	s_sub_i32 s26, 0, s24
	v_mov_b32_e32 v15, v3
	v_rcp_iflag_f32_e32 v4, v4
	v_mul_f32_e32 v4, 0x4f7ffffe, v4
	v_cvt_u32_f32_e32 v4, v4
	v_mul_lo_u32 v8, s26, v4
	v_mul_hi_u32 v8, v4, v8
	v_add_u32_e32 v4, v4, v8
	v_mul_hi_u32 v4, v5, v4
	v_mul_lo_u32 v8, v4, s24
	v_add_u32_e32 v9, 1, v4
	v_sub_u32_e32 v8, v5, v8
	v_subrev_u32_e32 v10, s24, v8
	v_cmp_le_u32_e32 vcc, s24, v8
	v_cndmask_b32_e32 v8, v8, v10, vcc
	v_cndmask_b32_e32 v4, v4, v9, vcc
	v_add_u32_e32 v9, 1, v4
	v_cmp_le_u32_e32 vcc, s24, v8
	v_cndmask_b32_e32 v14, v4, v9, vcc
.LBB0_6:                                ;   in Loop: Header=BB0_2 Depth=1
	s_or_b64 exec, exec, s[0:1]
	v_mul_lo_u32 v4, v15, s24
	v_mul_lo_u32 v10, v14, s25
	v_mad_u64_u32 v[8:9], s[0:1], v14, s24, 0
	s_load_dwordx2 s[0:1], s[6:7], 0x0
	s_load_dwordx2 s[24:25], s[2:3], 0x0
	v_add3_u32 v4, v9, v10, v4
	v_sub_co_u32_e32 v5, vcc, v5, v8
	v_subb_co_u32_e32 v4, vcc, v6, v4, vcc
	s_waitcnt lgkmcnt(0)
	v_mul_lo_u32 v6, s0, v4
	v_mul_lo_u32 v8, s1, v5
	v_mad_u64_u32 v[1:2], s[0:1], s0, v5, v[1:2]
	v_mul_lo_u32 v4, s24, v4
	v_mul_lo_u32 v9, s25, v5
	v_mad_u64_u32 v[12:13], s[0:1], s24, v5, v[12:13]
	s_add_u32 s22, s22, 1
	s_addc_u32 s23, s23, 0
	s_add_u32 s2, s2, 8
	v_add3_u32 v13, v9, v13, v4
	s_addc_u32 s3, s3, 0
	v_mov_b32_e32 v4, s14
	s_add_u32 s6, s6, 8
	v_mov_b32_e32 v5, s15
	s_addc_u32 s7, s7, 0
	v_cmp_ge_u64_e32 vcc, s[22:23], v[4:5]
	s_add_u32 s20, s20, 8
	v_add3_u32 v2, v8, v2, v6
	s_addc_u32 s21, s21, 0
	s_cbranch_vccnz .LBB0_9
; %bb.7:                                ;   in Loop: Header=BB0_2 Depth=1
	v_mov_b32_e32 v5, v14
	v_mov_b32_e32 v6, v15
	s_branch .LBB0_2
.LBB0_8:
	v_mov_b32_e32 v13, v2
	v_mov_b32_e32 v15, v6
	;; [unrolled: 1-line block ×4, first 2 shown]
.LBB0_9:
	s_load_dwordx2 s[2:3], s[4:5], 0x28
	s_lshl_b64 s[6:7], s[14:15], 3
	s_add_u32 s14, s18, s6
	v_and_b32_e32 v3, 1, v7
	s_addc_u32 s15, s19, s7
	s_waitcnt lgkmcnt(0)
	v_cmp_gt_u64_e64 s[0:1], s[2:3], v[14:15]
	v_cmp_le_u64_e64 s[2:3], s[2:3], v[14:15]
	v_cmp_eq_u32_e32 vcc, 1, v3
	v_mov_b32_e32 v3, 0x303
                                        ; implicit-def: $vgpr16
	s_and_saveexec_b64 s[4:5], s[2:3]
	s_xor_b64 s[2:3], exec, s[4:5]
; %bb.10:
	s_mov_b32 s4, 0x253c826
	v_mul_hi_u32 v1, v0, s4
	v_mul_u32_u24_e32 v1, 0x6e, v1
	v_sub_u32_e32 v16, v0, v1
                                        ; implicit-def: $vgpr0
                                        ; implicit-def: $vgpr1_vgpr2
; %bb.11:
	s_or_saveexec_b64 s[4:5], s[2:3]
	s_load_dwordx2 s[2:3], s[14:15], 0x0
	v_cndmask_b32_e32 v4, 0, v3, vcc
	v_lshlrev_b32_e32 v28, 3, v4
	s_xor_b64 exec, exec, s[4:5]
	s_cbranch_execz .LBB0_15
; %bb.12:
	s_add_u32 s6, s16, s6
	s_addc_u32 s7, s17, s7
	s_load_dwordx2 s[6:7], s[6:7], 0x0
	s_mov_b32 s14, 0x253c826
	v_mul_hi_u32 v3, v0, s14
	v_lshlrev_b64 v[1:2], 3, v[1:2]
	s_waitcnt lgkmcnt(0)
	v_mul_lo_u32 v7, s7, v14
	v_mul_lo_u32 v8, s6, v15
	v_mad_u64_u32 v[5:6], s[6:7], s6, v14, 0
	v_mul_u32_u24_e32 v3, 0x6e, v3
	v_sub_u32_e32 v16, v0, v3
	v_add3_u32 v6, v6, v8, v7
	v_lshlrev_b64 v[5:6], 3, v[5:6]
	v_mov_b32_e32 v0, s9
	v_add_co_u32_e32 v3, vcc, s8, v5
	v_addc_co_u32_e32 v0, vcc, v0, v6, vcc
	v_add_co_u32_e32 v1, vcc, v3, v1
	v_addc_co_u32_e32 v0, vcc, v0, v2, vcc
	v_lshlrev_b32_e32 v11, 3, v16
	v_add_co_u32_e32 v2, vcc, v1, v11
	v_addc_co_u32_e32 v3, vcc, 0, v0, vcc
	v_add_co_u32_e32 v19, vcc, 0x1000, v2
	global_load_dwordx2 v[5:6], v[2:3], off
	global_load_dwordx2 v[7:8], v[2:3], off offset:880
	global_load_dwordx2 v[9:10], v[2:3], off offset:1760
	;; [unrolled: 1-line block ×3, first 2 shown]
	v_addc_co_u32_e32 v20, vcc, 0, v3, vcc
	global_load_dwordx2 v[21:22], v[2:3], off offset:3520
	global_load_dwordx2 v[23:24], v[19:20], off offset:304
	;; [unrolled: 1-line block ×3, first 2 shown]
	s_movk_i32 s6, 0x6d
	v_add3_u32 v2, 0, v28, v11
	v_cmp_eq_u32_e32 vcc, s6, v16
	v_add_u32_e32 v3, 0x400, v2
	v_add_u32_e32 v11, 0xc00, v2
	s_waitcnt vmcnt(5)
	ds_write2_b64 v2, v[5:6], v[7:8] offset1:110
	s_waitcnt vmcnt(3)
	ds_write2_b64 v3, v[9:10], v[17:18] offset0:92 offset1:202
	s_waitcnt vmcnt(1)
	ds_write2_b64 v11, v[21:22], v[23:24] offset0:56 offset1:166
	s_waitcnt vmcnt(0)
	ds_write_b64 v2, v[25:26] offset:5280
	s_and_saveexec_b64 s[6:7], vcc
	s_cbranch_execz .LBB0_14
; %bb.13:
	v_add_co_u32_e32 v5, vcc, 0x1000, v1
	v_addc_co_u32_e32 v6, vcc, 0, v0, vcc
	global_load_dwordx2 v[0:1], v[5:6], off offset:2064
	v_mov_b32_e32 v16, 0x6d
	s_waitcnt vmcnt(0)
	ds_write_b64 v2, v[0:1] offset:5288
.LBB0_14:
	s_or_b64 exec, exec, s[6:7]
.LBB0_15:
	s_or_b64 exec, exec, s[4:5]
	v_lshl_add_u32 v27, v4, 3, 0
	v_lshlrev_b32_e32 v0, 3, v16
	v_add_u32_e32 v29, v27, v0
	s_waitcnt lgkmcnt(0)
	s_barrier
	v_sub_u32_e32 v5, v27, v0
	ds_read_b32 v6, v29
	ds_read_b32 v7, v5 offset:6160
	s_add_u32 s6, s12, 0x17b8
	s_addc_u32 s7, s13, 0
	v_cmp_ne_u32_e32 vcc, 0, v16
                                        ; implicit-def: $vgpr2_vgpr3
	s_waitcnt lgkmcnt(0)
	v_add_f32_e32 v0, v7, v6
	v_sub_f32_e32 v1, v6, v7
	s_and_saveexec_b64 s[4:5], vcc
	s_xor_b64 s[4:5], exec, s[4:5]
	s_cbranch_execz .LBB0_17
; %bb.16:
	v_mov_b32_e32 v17, 0
	v_lshlrev_b64 v[0:1], 3, v[16:17]
	v_mov_b32_e32 v2, s7
	v_add_co_u32_e32 v0, vcc, s6, v0
	v_addc_co_u32_e32 v1, vcc, v2, v1, vcc
	global_load_dwordx2 v[2:3], v[0:1], off
	ds_read_b32 v0, v5 offset:6164
	ds_read_b32 v1, v29 offset:4
	v_add_f32_e32 v8, v7, v6
	v_sub_f32_e32 v9, v6, v7
	s_waitcnt lgkmcnt(0)
	v_add_f32_e32 v10, v0, v1
	v_sub_f32_e32 v0, v1, v0
	s_waitcnt vmcnt(0)
	v_fma_f32 v11, v9, v3, v8
	v_fma_f32 v1, v10, v3, v0
	v_fma_f32 v6, -v9, v3, v8
	v_fma_f32 v7, v10, v3, -v0
	v_fma_f32 v0, -v2, v10, v11
	v_fmac_f32_e32 v1, v9, v2
	v_fmac_f32_e32 v6, v2, v10
	;; [unrolled: 1-line block ×3, first 2 shown]
	v_mov_b32_e32 v2, v16
	ds_write_b64 v5, v[6:7] offset:6160
	v_mov_b32_e32 v3, v17
.LBB0_17:
	s_andn2_saveexec_b64 s[4:5], s[4:5]
	s_cbranch_execz .LBB0_19
; %bb.18:
	ds_read_b64 v[2:3], v27 offset:3080
	s_waitcnt lgkmcnt(0)
	v_add_f32_e32 v6, v2, v2
	v_mul_f32_e32 v7, -2.0, v3
	v_mov_b32_e32 v2, 0
	v_mov_b32_e32 v3, 0
	ds_write_b64 v27, v[6:7] offset:3080
.LBB0_19:
	s_or_b64 exec, exec, s[4:5]
	v_lshlrev_b64 v[2:3], 3, v[2:3]
	v_mov_b32_e32 v6, s7
	v_add_co_u32_e32 v2, vcc, s6, v2
	v_addc_co_u32_e32 v3, vcc, v6, v3, vcc
	global_load_dwordx2 v[6:7], v[2:3], off offset:880
	global_load_dwordx2 v[8:9], v[2:3], off offset:1760
	ds_write_b64 v29, v[0:1]
	ds_read_b64 v[0:1], v29 offset:880
	ds_read_b64 v[10:11], v5 offset:5280
	v_cmp_gt_u32_e32 vcc, 55, v16
	s_waitcnt lgkmcnt(0)
	v_add_f32_e32 v17, v0, v10
	v_add_f32_e32 v18, v11, v1
	v_sub_f32_e32 v19, v0, v10
	v_sub_f32_e32 v0, v1, v11
	s_waitcnt vmcnt(1)
	v_fma_f32 v20, v19, v7, v17
	v_fma_f32 v1, v18, v7, v0
	v_fma_f32 v10, -v19, v7, v17
	v_fma_f32 v11, v18, v7, -v0
	v_fma_f32 v0, -v6, v18, v20
	v_fmac_f32_e32 v1, v19, v6
	v_fmac_f32_e32 v10, v6, v18
	;; [unrolled: 1-line block ×3, first 2 shown]
	ds_write_b64 v29, v[0:1] offset:880
	ds_write_b64 v5, v[10:11] offset:5280
	ds_read_b64 v[0:1], v29 offset:1760
	ds_read_b64 v[6:7], v5 offset:4400
	s_waitcnt lgkmcnt(0)
	v_add_f32_e32 v10, v0, v6
	v_add_f32_e32 v11, v7, v1
	v_sub_f32_e32 v17, v0, v6
	v_sub_f32_e32 v0, v1, v7
	s_waitcnt vmcnt(0)
	v_fma_f32 v18, v17, v9, v10
	v_fma_f32 v1, v11, v9, v0
	v_fma_f32 v6, -v17, v9, v10
	v_fma_f32 v7, v11, v9, -v0
	v_fma_f32 v0, -v8, v11, v18
	v_fmac_f32_e32 v1, v17, v8
	v_fmac_f32_e32 v6, v8, v11
	v_fmac_f32_e32 v7, v17, v8
	ds_write_b64 v29, v[0:1] offset:1760
	ds_write_b64 v5, v[6:7] offset:4400
	s_and_saveexec_b64 s[4:5], vcc
	s_cbranch_execz .LBB0_21
; %bb.20:
	global_load_dwordx2 v[0:1], v[2:3], off offset:2640
	ds_read_b64 v[2:3], v29 offset:2640
	ds_read_b64 v[6:7], v5 offset:3520
	s_waitcnt lgkmcnt(0)
	v_add_f32_e32 v8, v2, v6
	v_add_f32_e32 v9, v7, v3
	v_sub_f32_e32 v10, v2, v6
	v_sub_f32_e32 v3, v3, v7
	s_waitcnt vmcnt(0)
	v_fma_f32 v11, v10, v1, v8
	v_fma_f32 v2, v9, v1, v3
	v_fma_f32 v6, -v10, v1, v8
	v_fma_f32 v7, v9, v1, -v3
	v_fma_f32 v1, -v0, v9, v11
	v_fmac_f32_e32 v2, v10, v0
	v_fmac_f32_e32 v6, v0, v9
	;; [unrolled: 1-line block ×3, first 2 shown]
	ds_write_b64 v29, v[1:2] offset:2640
	ds_write_b64 v5, v[6:7] offset:3520
.LBB0_21:
	s_or_b64 exec, exec, s[4:5]
	v_lshl_add_u32 v31, v16, 3, 0
	v_lshl_add_u32 v30, v4, 3, v31
	s_waitcnt lgkmcnt(0)
	s_barrier
	s_barrier
	ds_read_b64 v[19:20], v29
	ds_read2_b64 v[21:24], v30 offset0:70 offset1:140
	v_add_u32_e32 v0, 0x400, v30
	ds_read2_b64 v[4:7], v0 offset0:82 offset1:152
	v_add_u32_e32 v0, 0x800, v30
	;; [unrolled: 2-line block ×3, first 2 shown]
	v_add_u32_e32 v8, 0xc00, v30
	ds_read2_b64 v[36:39], v17 offset0:118 offset1:188
	s_waitcnt lgkmcnt(3)
	v_add_f32_e32 v17, v19, v21
	ds_read2_b64 v[8:11], v8 offset0:106 offset1:176
	v_add_f32_e32 v18, v20, v22
	v_add_f32_e32 v17, v17, v23
	v_add_f32_e32 v18, v18, v24
	s_waitcnt lgkmcnt(3)
	v_add_f32_e32 v17, v17, v4
	v_add_f32_e32 v18, v18, v5
	v_add_f32_e32 v17, v17, v6
	v_add_f32_e32 v18, v18, v7
	s_waitcnt lgkmcnt(2)
	v_add_f32_e32 v17, v17, v0
	;; [unrolled: 5-line block ×3, first 2 shown]
	v_add_f32_e32 v18, v18, v9
	v_add_f32_e32 v17, v17, v10
	;; [unrolled: 1-line block ×5, first 2 shown]
	v_sub_f32_e32 v22, v22, v39
	v_add_f32_e32 v18, v18, v37
	v_add_f32_e32 v17, v17, v38
	;; [unrolled: 1-line block ×3, first 2 shown]
	v_sub_f32_e32 v21, v21, v38
	v_mul_f32_e32 v38, 0xbf68dda4, v22
	v_add_f32_e32 v18, v18, v39
	v_mov_b32_e32 v39, v38
	s_mov_b32 s5, 0x3ed4b147
	v_fmac_f32_e32 v39, 0x3ed4b147, v34
	v_add_f32_e32 v40, v19, v39
	v_mul_f32_e32 v39, 0x3ed4b147, v35
	v_fma_f32 v38, v34, s5, -v38
	v_mov_b32_e32 v41, v39
	v_add_f32_e32 v42, v19, v38
	v_fmac_f32_e32 v39, 0xbf68dda4, v21
	v_mul_f32_e32 v38, 0xbf7d64f0, v22
	v_add_f32_e32 v43, v20, v39
	v_mov_b32_e32 v39, v38
	s_mov_b32 s4, 0xbe11bafb
	v_fmac_f32_e32 v39, 0xbe11bafb, v34
	v_add_f32_e32 v44, v19, v39
	v_mul_f32_e32 v39, 0xbe11bafb, v35
	v_fma_f32 v38, v34, s4, -v38
	v_mov_b32_e32 v45, v39
	v_add_f32_e32 v46, v19, v38
	v_fmac_f32_e32 v39, 0xbf7d64f0, v21
	v_mul_f32_e32 v38, 0xbf4178ce, v22
	s_mov_b32 s6, 0xbf27a4f4
	v_mul_f32_e32 v32, 0xbf0a6770, v22
	v_add_f32_e32 v47, v20, v39
	v_mov_b32_e32 v39, v38
	v_fma_f32 v38, v34, s6, -v38
	v_mul_f32_e32 v22, 0xbe903f40, v22
	v_fmac_f32_e32 v39, 0xbf27a4f4, v34
	v_add_f32_e32 v50, v19, v38
	v_mov_b32_e32 v38, v22
	v_add_f32_e32 v48, v19, v39
	v_mul_f32_e32 v39, 0xbf27a4f4, v35
	v_fmac_f32_e32 v38, 0xbf75a155, v34
	v_mov_b32_e32 v49, v39
	v_fmac_f32_e32 v39, 0xbf4178ce, v21
	v_add_f32_e32 v52, v19, v38
	v_mul_f32_e32 v38, 0xbf75a155, v35
	v_add_f32_e32 v51, v20, v39
	v_mov_b32_e32 v39, v38
	v_fmac_f32_e32 v39, 0x3e903f40, v21
	v_add_f32_e32 v53, v20, v39
	v_fmac_f32_e32 v38, 0xbe903f40, v21
	v_add_f32_e32 v39, v37, v24
	v_sub_f32_e32 v24, v24, v37
	v_mov_b32_e32 v25, v32
	v_mul_f32_e32 v33, 0xbf0a6770, v21
	v_fmac_f32_e32 v41, 0x3f68dda4, v21
	v_fmac_f32_e32 v45, 0x3f7d64f0, v21
	;; [unrolled: 1-line block ×3, first 2 shown]
	v_add_f32_e32 v21, v20, v38
	v_add_f32_e32 v38, v36, v23
	v_sub_f32_e32 v23, v23, v36
	v_mul_f32_e32 v36, 0xbf68dda4, v24
	v_fmac_f32_e32 v25, 0x3f575c64, v34
	v_mov_b32_e32 v37, v36
	s_mov_b32 s7, 0x3f575c64
	v_add_f32_e32 v25, v19, v25
	v_fmac_f32_e32 v37, 0x3ed4b147, v38
	v_fma_f32 v26, v35, s7, -v33
	v_add_f32_e32 v25, v37, v25
	v_mul_f32_e32 v37, 0xbf68dda4, v23
	v_add_f32_e32 v26, v20, v26
	v_fma_f32 v54, v39, s5, -v37
	v_add_f32_e32 v26, v54, v26
	v_mul_f32_e32 v54, 0xbf4178ce, v24
	v_mov_b32_e32 v55, v54
	v_fmac_f32_e32 v55, 0xbf27a4f4, v38
	v_add_f32_e32 v55, v55, v40
	v_mul_f32_e32 v40, 0xbf27a4f4, v39
	v_mov_b32_e32 v56, v40
	v_add_f32_e32 v41, v20, v41
	v_fmac_f32_e32 v56, 0x3f4178ce, v23
	v_fmac_f32_e32 v40, 0xbf4178ce, v23
	v_add_f32_e32 v56, v56, v41
	v_fma_f32 v41, v38, s6, -v54
	v_add_f32_e32 v57, v40, v43
	v_mul_f32_e32 v40, 0x3e903f40, v24
	v_add_f32_e32 v54, v41, v42
	v_mov_b32_e32 v41, v40
	s_mov_b32 s8, 0xbf75a155
	v_fmac_f32_e32 v41, 0xbf75a155, v38
	v_add_f32_e32 v44, v41, v44
	v_mul_f32_e32 v41, 0xbf75a155, v39
	v_fma_f32 v40, v38, s8, -v40
	v_mov_b32_e32 v42, v41
	v_add_f32_e32 v46, v40, v46
	v_fmac_f32_e32 v41, 0x3e903f40, v23
	v_mul_f32_e32 v40, 0x3f7d64f0, v24
	v_add_f32_e32 v47, v41, v47
	v_mov_b32_e32 v41, v40
	v_fma_f32 v40, v38, s4, -v40
	v_mul_f32_e32 v24, 0x3f0a6770, v24
	v_fmac_f32_e32 v41, 0xbe11bafb, v38
	v_add_f32_e32 v50, v40, v50
	v_mov_b32_e32 v40, v24
	v_add_f32_e32 v45, v20, v45
	v_fmac_f32_e32 v42, 0xbe903f40, v23
	v_add_f32_e32 v48, v41, v48
	v_mul_f32_e32 v41, 0xbe11bafb, v39
	v_fmac_f32_e32 v40, 0x3f575c64, v38
	v_add_f32_e32 v45, v42, v45
	v_mov_b32_e32 v42, v41
	v_fmac_f32_e32 v41, 0x3f7d64f0, v23
	v_add_f32_e32 v52, v40, v52
	v_mul_f32_e32 v40, 0x3f575c64, v39
	v_add_f32_e32 v49, v20, v49
	v_fma_f32 v22, v34, s8, -v22
	v_fmac_f32_e32 v42, 0xbf7d64f0, v23
	v_add_f32_e32 v51, v41, v51
	v_mov_b32_e32 v41, v40
	v_fmac_f32_e32 v40, 0x3f0a6770, v23
	v_add_f32_e32 v43, v11, v5
	v_sub_f32_e32 v5, v5, v11
	v_add_f32_e32 v22, v19, v22
	v_add_f32_e32 v49, v42, v49
	v_fmac_f32_e32 v41, 0xbf0a6770, v23
	v_fma_f32 v24, v38, s7, -v24
	v_add_f32_e32 v21, v40, v21
	v_add_f32_e32 v42, v10, v4
	v_mul_f32_e32 v40, 0xbf7d64f0, v5
	v_mul_f32_e32 v23, 0x3e903f40, v5
	v_add_f32_e32 v22, v24, v22
	v_sub_f32_e32 v4, v4, v10
	v_mov_b32_e32 v10, v40
	v_mov_b32_e32 v24, v23
	v_fma_f32 v23, v42, s8, -v23
	v_add_f32_e32 v53, v41, v53
	v_fmac_f32_e32 v10, 0xbe11bafb, v42
	v_mul_f32_e32 v41, 0xbf7d64f0, v4
	v_fmac_f32_e32 v24, 0xbf75a155, v42
	v_add_f32_e32 v23, v23, v54
	v_mul_f32_e32 v54, 0x3f68dda4, v5
	v_add_f32_e32 v10, v10, v25
	v_fma_f32 v11, v43, s4, -v41
	v_add_f32_e32 v24, v24, v55
	v_mul_f32_e32 v25, 0xbf75a155, v43
	v_mov_b32_e32 v55, v54
	v_add_f32_e32 v11, v11, v26
	v_mov_b32_e32 v26, v25
	v_fmac_f32_e32 v55, 0x3ed4b147, v42
	v_fmac_f32_e32 v26, 0xbe903f40, v4
	v_add_f32_e32 v55, v55, v44
	v_mul_f32_e32 v44, 0x3ed4b147, v43
	v_add_f32_e32 v26, v26, v56
	v_mov_b32_e32 v56, v44
	v_fmac_f32_e32 v25, 0x3e903f40, v4
	v_fmac_f32_e32 v56, 0xbf68dda4, v4
	;; [unrolled: 1-line block ×3, first 2 shown]
	v_add_f32_e32 v25, v25, v57
	v_add_f32_e32 v56, v56, v45
	v_fma_f32 v45, v42, s5, -v54
	v_add_f32_e32 v57, v44, v47
	v_mul_f32_e32 v44, 0xbf0a6770, v5
	v_add_f32_e32 v54, v45, v46
	v_mov_b32_e32 v45, v44
	v_fma_f32 v44, v42, s7, -v44
	v_mul_f32_e32 v5, 0xbf4178ce, v5
	v_fmac_f32_e32 v45, 0x3f575c64, v42
	v_add_f32_e32 v50, v44, v50
	v_mov_b32_e32 v44, v5
	v_add_f32_e32 v48, v45, v48
	v_mul_f32_e32 v45, 0x3f575c64, v43
	v_fmac_f32_e32 v44, 0xbf27a4f4, v42
	v_mov_b32_e32 v46, v45
	v_fmac_f32_e32 v45, 0xbf0a6770, v4
	v_add_f32_e32 v52, v44, v52
	v_mul_f32_e32 v44, 0xbf27a4f4, v43
	v_add_f32_e32 v51, v45, v51
	v_mov_b32_e32 v45, v44
	v_fmac_f32_e32 v44, 0xbf4178ce, v4
	v_add_f32_e32 v47, v9, v7
	v_sub_f32_e32 v7, v7, v9
	v_fmac_f32_e32 v46, 0x3f0a6770, v4
	v_fmac_f32_e32 v45, 0x3f4178ce, v4
	v_add_f32_e32 v4, v44, v21
	v_mul_f32_e32 v44, 0xbf4178ce, v7
	v_add_f32_e32 v49, v46, v49
	v_add_f32_e32 v46, v8, v6
	v_sub_f32_e32 v6, v6, v8
	v_mov_b32_e32 v8, v44
	v_add_f32_e32 v53, v45, v53
	v_fmac_f32_e32 v8, 0xbf27a4f4, v46
	v_mul_f32_e32 v45, 0xbf4178ce, v6
	v_add_f32_e32 v8, v8, v10
	v_fma_f32 v9, v47, s6, -v45
	v_mul_f32_e32 v10, 0x3f7d64f0, v7
	v_add_f32_e32 v9, v9, v11
	v_mov_b32_e32 v11, v10
	v_fmac_f32_e32 v11, 0xbe11bafb, v46
	v_add_f32_e32 v58, v11, v24
	v_mul_f32_e32 v11, 0xbe11bafb, v47
	v_fma_f32 v10, v46, s4, -v10
	v_mov_b32_e32 v21, v11
	v_add_f32_e32 v60, v10, v23
	v_fmac_f32_e32 v11, 0x3f7d64f0, v6
	v_mul_f32_e32 v10, 0xbf0a6770, v7
	v_add_f32_e32 v61, v11, v25
	v_mov_b32_e32 v11, v10
	v_fmac_f32_e32 v11, 0x3f575c64, v46
	v_fmac_f32_e32 v21, 0xbf7d64f0, v6
	v_add_f32_e32 v55, v11, v55
	v_mul_f32_e32 v11, 0x3f575c64, v47
	v_add_f32_e32 v59, v21, v26
	v_mov_b32_e32 v21, v11
	v_mul_f32_e32 v26, 0x3ed4b147, v47
	v_fmac_f32_e32 v21, 0x3f0a6770, v6
	v_mov_b32_e32 v24, v26
	v_add_f32_e32 v56, v21, v56
	v_fma_f32 v10, v46, s7, -v10
	v_mul_f32_e32 v21, 0xbe903f40, v7
	v_mul_f32_e32 v7, 0x3f68dda4, v7
	v_fmac_f32_e32 v24, 0xbf68dda4, v6
	v_add_f32_e32 v54, v10, v54
	v_mov_b32_e32 v10, v21
	v_fma_f32 v21, v46, s8, -v21
	v_mov_b32_e32 v23, v7
	v_add_f32_e32 v24, v24, v53
	v_sub_f32_e32 v53, v1, v3
	v_fma_f32 v5, v42, s6, -v5
	v_fmac_f32_e32 v10, 0xbf75a155, v46
	v_add_f32_e32 v21, v21, v50
	v_fmac_f32_e32 v23, 0x3ed4b147, v46
	v_mul_f32_e32 v50, 0xbe903f40, v53
	v_add_f32_e32 v5, v5, v22
	v_fmac_f32_e32 v11, 0xbf0a6770, v6
	v_add_f32_e32 v10, v10, v48
	v_mul_f32_e32 v22, 0xbf75a155, v47
	v_add_f32_e32 v23, v23, v52
	v_add_f32_e32 v48, v2, v0
	v_sub_f32_e32 v52, v0, v2
	v_mov_b32_e32 v0, v50
	v_add_f32_e32 v57, v11, v57
	v_mov_b32_e32 v11, v22
	v_fmac_f32_e32 v0, 0xbf75a155, v48
	v_fmac_f32_e32 v11, 0x3e903f40, v6
	v_fmac_f32_e32 v22, 0xbe903f40, v6
	v_add_f32_e32 v0, v0, v8
	v_mul_f32_e32 v8, 0xbf4178ce, v53
	v_add_f32_e32 v11, v11, v49
	v_add_f32_e32 v22, v22, v51
	v_fmac_f32_e32 v26, 0x3f68dda4, v6
	v_add_f32_e32 v49, v3, v1
	v_mul_f32_e32 v51, 0xbe903f40, v52
	v_mov_b32_e32 v6, v8
	v_fma_f32 v8, v48, s6, -v8
	v_fma_f32 v1, v49, s8, -v51
	v_fmac_f32_e32 v6, 0xbf27a4f4, v48
	v_add_f32_e32 v8, v8, v54
	v_mul_f32_e32 v54, 0x3f68dda4, v53
	v_fma_f32 v7, v46, s5, -v7
	v_add_f32_e32 v1, v1, v9
	v_mul_f32_e32 v2, 0x3f0a6770, v53
	v_add_f32_e32 v6, v6, v55
	v_mul_f32_e32 v9, 0xbf27a4f4, v49
	v_mov_b32_e32 v55, v54
	v_fma_f32 v54, v48, s5, -v54
	v_mul_f32_e32 v53, 0xbf7d64f0, v53
	v_add_f32_e32 v25, v7, v5
	v_mov_b32_e32 v3, v2
	v_mov_b32_e32 v7, v9
	v_fmac_f32_e32 v55, 0x3ed4b147, v48
	v_add_f32_e32 v21, v54, v21
	v_mov_b32_e32 v54, v53
	v_fmac_f32_e32 v3, 0x3f575c64, v48
	v_fmac_f32_e32 v7, 0x3f4178ce, v52
	v_add_f32_e32 v10, v55, v10
	v_mul_f32_e32 v55, 0x3ed4b147, v49
	v_fmac_f32_e32 v54, 0xbe11bafb, v48
	v_add_f32_e32 v26, v26, v4
	v_add_f32_e32 v4, v3, v58
	v_mul_f32_e32 v3, 0x3f575c64, v49
	v_add_f32_e32 v7, v7, v56
	v_mov_b32_e32 v56, v55
	v_fmac_f32_e32 v55, 0x3f68dda4, v52
	v_add_f32_e32 v23, v54, v23
	v_mul_f32_e32 v54, 0xbe11bafb, v49
	v_mov_b32_e32 v5, v3
	v_add_f32_e32 v22, v55, v22
	v_mov_b32_e32 v55, v54
	v_fmac_f32_e32 v5, 0xbf0a6770, v52
	v_fma_f32 v2, v48, s7, -v2
	v_fmac_f32_e32 v3, 0x3f0a6770, v52
	v_fmac_f32_e32 v9, 0xbf4178ce, v52
	;; [unrolled: 1-line block ×4, first 2 shown]
	v_fma_f32 v53, v48, s4, -v53
	v_fmac_f32_e32 v54, 0xbf7d64f0, v52
	s_movk_i32 s4, 0x46
	v_add_f32_e32 v5, v5, v59
	v_add_f32_e32 v2, v2, v60
	v_add_f32_e32 v3, v3, v61
	v_add_f32_e32 v9, v9, v57
	v_add_f32_e32 v11, v56, v11
	v_add_f32_e32 v24, v55, v24
	v_add_f32_e32 v25, v53, v25
	v_add_f32_e32 v26, v54, v26
	v_cmp_gt_u32_e32 vcc, s4, v16
	s_barrier
	s_and_saveexec_b64 s[4:5], vcc
	s_cbranch_execz .LBB0_23
; %bb.22:
	v_mul_f32_e32 v34, 0x3f575c64, v34
	v_mul_f32_e32 v38, 0x3ed4b147, v38
	v_sub_f32_e32 v32, v34, v32
	v_mul_f32_e32 v35, 0x3f575c64, v35
	v_mul_f32_e32 v42, 0xbe11bafb, v42
	v_add_f32_e32 v19, v19, v32
	v_sub_f32_e32 v32, v38, v36
	v_mul_f32_e32 v39, 0x3ed4b147, v39
	v_mul_f32_e32 v46, 0xbf27a4f4, v46
	v_add_f32_e32 v33, v33, v35
	v_add_f32_e32 v19, v32, v19
	v_sub_f32_e32 v32, v42, v40
	v_mul_f32_e32 v43, 0xbe11bafb, v43
	v_mul_f32_e32 v48, 0xbf75a155, v48
	v_add_f32_e32 v20, v20, v33
	v_add_f32_e32 v33, v37, v39
	;; [unrolled: 1-line block ×3, first 2 shown]
	v_sub_f32_e32 v32, v46, v44
	v_mul_f32_e32 v47, 0xbf27a4f4, v47
	v_add_f32_e32 v20, v33, v20
	v_add_f32_e32 v33, v41, v43
	;; [unrolled: 1-line block ×3, first 2 shown]
	v_sub_f32_e32 v32, v48, v50
	v_mul_f32_e32 v49, 0xbf75a155, v49
	v_add_f32_e32 v20, v33, v20
	v_add_f32_e32 v33, v45, v47
	;; [unrolled: 1-line block ×3, first 2 shown]
	v_mul_u32_u24_e32 v32, 0x50, v16
	v_add_f32_e32 v20, v33, v20
	v_add_f32_e32 v33, v51, v49
	v_add3_u32 v31, v31, v32, v28
	v_add_f32_e32 v20, v33, v20
	ds_write2_b64 v31, v[17:18], v[0:1] offset1:1
	ds_write2_b64 v31, v[4:5], v[6:7] offset0:2 offset1:3
	ds_write2_b64 v31, v[10:11], v[23:24] offset0:4 offset1:5
	;; [unrolled: 1-line block ×4, first 2 shown]
	ds_write_b64 v31, v[19:20] offset:80
.LBB0_23:
	s_or_b64 exec, exec, s[4:5]
	s_movk_i32 s4, 0x4d
	v_cmp_gt_u32_e32 vcc, s4, v16
	s_waitcnt lgkmcnt(0)
	s_barrier
	s_and_saveexec_b64 s[4:5], vcc
	s_cbranch_execz .LBB0_25
; %bb.24:
	v_add_u32_e32 v0, 0x400, v30
	ds_read2_b64 v[4:7], v0 offset0:103 offset1:180
	v_add_u32_e32 v0, 0x1000, v30
	ds_read2_b64 v[19:22], v0 offset0:27 offset1:104
	;; [unrolled: 2-line block ×3, first 2 shown]
	ds_read2_b64 v[23:26], v0 offset0:129 offset1:206
	ds_read_b64 v[17:18], v29
	ds_read_b64 v[2:3], v30 offset:5544
	s_waitcnt lgkmcnt(5)
	v_mov_b32_e32 v11, v7
	s_waitcnt lgkmcnt(4)
	v_mov_b32_e32 v9, v22
	v_mov_b32_e32 v8, v21
	;; [unrolled: 1-line block ×7, first 2 shown]
	s_waitcnt lgkmcnt(3)
	v_mov_b32_e32 v5, v34
	v_mov_b32_e32 v4, v33
	;; [unrolled: 1-line block ×4, first 2 shown]
.LBB0_25:
	s_or_b64 exec, exec, s[4:5]
	s_waitcnt lgkmcnt(0)
	s_barrier
	s_and_saveexec_b64 s[4:5], vcc
	s_cbranch_execz .LBB0_27
; %bb.26:
	s_movk_i32 s6, 0x75
	v_mul_lo_u16_sdwa v19, v16, s6 dst_sel:DWORD dst_unused:UNUSED_PAD src0_sel:BYTE_0 src1_sel:DWORD
	v_sub_u16_sdwa v20, v16, v19 dst_sel:DWORD dst_unused:UNUSED_PAD src0_sel:DWORD src1_sel:BYTE_1
	v_lshrrev_b16_e32 v20, 1, v20
	v_and_b32_e32 v20, 0x7f, v20
	v_add_u16_sdwa v19, v20, v19 dst_sel:DWORD dst_unused:UNUSED_PAD src0_sel:DWORD src1_sel:BYTE_1
	v_lshrrev_b16_e32 v47, 3, v19
	v_mul_lo_u16_e32 v19, 11, v47
	v_sub_u16_e32 v48, v16, v19
	v_mov_b32_e32 v19, 9
	v_mul_u32_u24_sdwa v19, v48, v19 dst_sel:DWORD dst_unused:UNUSED_PAD src0_sel:BYTE_0 src1_sel:DWORD
	v_lshlrev_b32_e32 v49, 3, v19
	global_load_dwordx4 v[31:34], v49, s[12:13]
	global_load_dwordx4 v[35:38], v49, s[12:13] offset:16
	global_load_dwordx4 v[39:42], v49, s[12:13] offset:48
	;; [unrolled: 1-line block ×3, first 2 shown]
	global_load_dwordx2 v[19:20], v49, s[12:13] offset:64
	s_movk_i32 s6, 0x370
	s_waitcnt vmcnt(4)
	v_mul_f32_e32 v49, v4, v34
	s_waitcnt vmcnt(3)
	v_mul_f32_e32 v50, v10, v38
	;; [unrolled: 2-line block ×4, first 2 shown]
	v_mul_f32_e32 v34, v5, v34
	v_mul_f32_e32 v42, v9, v42
	;; [unrolled: 1-line block ×6, first 2 shown]
	s_waitcnt vmcnt(0)
	v_mul_f32_e32 v55, v3, v20
	v_mul_f32_e32 v56, v22, v40
	;; [unrolled: 1-line block ×7, first 2 shown]
	v_fma_f32 v49, v5, v33, -v49
	v_fmac_f32_e32 v34, v4, v33
	v_mul_f32_e32 v4, v0, v32
	v_fma_f32 v11, v11, v37, -v50
	v_fma_f32 v32, v9, v41, -v51
	v_fma_f32 v26, v26, v45, -v52
	v_fmac_f32_e32 v42, v8, v41
	v_fmac_f32_e32 v53, v6, v35
	;; [unrolled: 1-line block ×4, first 2 shown]
	v_fma_f32 v0, v7, v35, -v36
	v_fma_f32 v2, v3, v19, -v20
	;; [unrolled: 1-line block ×5, first 2 shown]
	v_sub_f32_e32 v1, v49, v11
	v_sub_f32_e32 v3, v32, v26
	v_fmac_f32_e32 v54, v23, v43
	v_fmac_f32_e32 v56, v21, v39
	v_add_f32_e32 v43, v1, v3
	v_sub_f32_e32 v3, v6, v0
	v_sub_f32_e32 v50, v8, v2
	v_fmac_f32_e32 v38, v10, v37
	v_fmac_f32_e32 v46, v25, v45
	v_add_f32_e32 v5, v11, v26
	v_sub_f32_e32 v10, v53, v54
	v_sub_f32_e32 v19, v55, v56
	v_add_f32_e32 v20, v54, v56
	v_sub_f32_e32 v23, v0, v6
	v_sub_f32_e32 v24, v2, v8
	v_add_f32_e32 v25, v6, v8
	v_add_f32_e32 v50, v3, v50
	;; [unrolled: 1-line block ×3, first 2 shown]
	v_sub_f32_e32 v21, v0, v2
	v_sub_f32_e32 v35, v11, v49
	;; [unrolled: 1-line block ×3, first 2 shown]
	v_add_f32_e32 v37, v49, v32
	v_fma_f32 v44, -0.5, v5, v18
	v_add_f32_e32 v10, v10, v19
	v_fma_f32 v19, -0.5, v20, v57
	;; [unrolled: 2-line block ×3, first 2 shown]
	v_fma_f32 v51, -0.5, v3, v4
	v_add_f32_e32 v0, v4, v0
	v_sub_f32_e32 v7, v34, v42
	v_sub_f32_e32 v31, v53, v55
	;; [unrolled: 1-line block ×5, first 2 shown]
	v_add_f32_e32 v5, v35, v36
	v_fma_f32 v24, -0.5, v37, v18
	v_mov_b32_e32 v35, v44
	v_mov_b32_e32 v37, v23
	;; [unrolled: 1-line block ×3, first 2 shown]
	v_add_f32_e32 v0, v0, v6
	v_sub_f32_e32 v9, v38, v46
	v_add_f32_e32 v25, v39, v40
	v_mov_b32_e32 v36, v19
	v_mov_b32_e32 v39, v24
	v_fmac_f32_e32 v35, 0xbf737871, v7
	v_fmac_f32_e32 v37, 0xbf737871, v31
	;; [unrolled: 1-line block ×5, first 2 shown]
	v_add_f32_e32 v0, v0, v8
	v_sub_f32_e32 v22, v6, v8
	v_fmac_f32_e32 v36, 0x3f737871, v21
	v_fmac_f32_e32 v39, 0x3f737871, v9
	;; [unrolled: 1-line block ×9, first 2 shown]
	v_add_f32_e32 v9, v18, v49
	v_add_f32_e32 v31, v0, v2
	v_sub_f32_e32 v0, v34, v38
	v_sub_f32_e32 v2, v42, v46
	v_add_f32_e32 v41, v53, v55
	v_fmac_f32_e32 v36, 0x3f167918, v22
	v_fmac_f32_e32 v37, 0x3e9e377a, v20
	v_add_f32_e32 v9, v9, v11
	v_add_f32_e32 v6, v0, v2
	v_sub_f32_e32 v2, v38, v34
	v_sub_f32_e32 v4, v46, v42
	v_fmac_f32_e32 v36, 0x3e9e377a, v10
	v_mul_f32_e32 v40, 0xbf4f1bbd, v37
	v_fma_f32 v41, -0.5, v41, v57
	v_add_f32_e32 v9, v9, v26
	v_sub_f32_e32 v11, v11, v26
	v_mul_f32_e32 v26, 0xbf167918, v37
	v_add_f32_e32 v4, v2, v4
	v_add_f32_e32 v2, v34, v42
	v_fmac_f32_e32 v40, 0x3f167918, v36
	v_mov_b32_e32 v45, v41
	v_add_f32_e32 v0, v38, v46
	v_fmac_f32_e32 v26, 0xbf4f1bbd, v36
	v_fma_f32 v36, -0.5, v2, v17
	v_fmac_f32_e32 v45, 0xbf737871, v22
	v_fmac_f32_e32 v41, 0x3f737871, v22
	v_fmac_f32_e32 v23, 0x3f167918, v33
	v_fma_f32 v33, -0.5, v0, v17
	v_mov_b32_e32 v37, v36
	v_fmac_f32_e32 v45, 0x3f167918, v21
	v_fmac_f32_e32 v41, 0xbf167918, v21
	;; [unrolled: 1-line block ×3, first 2 shown]
	v_add_f32_e32 v21, v9, v32
	v_sub_f32_e32 v8, v49, v32
	v_mov_b32_e32 v32, v33
	v_fmac_f32_e32 v37, 0xbf737871, v11
	v_fmac_f32_e32 v36, 0x3f737871, v11
	;; [unrolled: 1-line block ×6, first 2 shown]
	v_add_f32_e32 v8, v17, v34
	v_add_f32_e32 v8, v8, v38
	v_fmac_f32_e32 v19, 0xbf167918, v22
	v_fmac_f32_e32 v23, 0x3e9e377a, v20
	v_add_f32_e32 v8, v8, v46
	v_fmac_f32_e32 v51, 0x3e9e377a, v50
	v_fmac_f32_e32 v19, 0x3e9e377a, v10
	v_mul_f32_e32 v10, 0x3f4f1bbd, v23
	v_fmac_f32_e32 v32, 0x3f167918, v11
	v_add_f32_e32 v34, v8, v42
	v_add_f32_e32 v8, v57, v53
	v_fmac_f32_e32 v45, 0x3e9e377a, v25
	v_fmac_f32_e32 v52, 0x3e9e377a, v50
	;; [unrolled: 1-line block ×4, first 2 shown]
	v_mul_f32_e32 v25, 0x3e9e377a, v51
	v_fmac_f32_e32 v44, 0x3e9e377a, v43
	v_fmac_f32_e32 v10, 0x3f167918, v19
	;; [unrolled: 1-line block ×3, first 2 shown]
	v_add_f32_e32 v8, v8, v54
	v_fmac_f32_e32 v39, 0xbf167918, v7
	v_fmac_f32_e32 v35, 0x3e9e377a, v43
	v_mul_f32_e32 v58, 0xbe9e377a, v52
	v_fmac_f32_e32 v24, 0x3e9e377a, v5
	v_fmac_f32_e32 v25, 0x3f737871, v41
	v_sub_f32_e32 v7, v44, v10
	v_sub_f32_e32 v0, v32, v26
	v_mul_f32_e32 v43, 0xbf737871, v52
	v_fmac_f32_e32 v33, 0xbf167918, v11
	v_mul_f32_e32 v23, 0xbf167918, v23
	v_add_f32_e32 v8, v8, v56
	v_add_f32_e32 v22, v44, v10
	;; [unrolled: 1-line block ×3, first 2 shown]
	v_mov_b32_e32 v26, 3
	v_fmac_f32_e32 v39, 0x3e9e377a, v5
	v_fmac_f32_e32 v58, 0x3f737871, v45
	v_sub_f32_e32 v5, v24, v25
	v_fmac_f32_e32 v43, 0xbe9e377a, v45
	v_mul_f32_e32 v45, 0xbf737871, v51
	v_fmac_f32_e32 v33, 0x3e9e377a, v6
	v_fmac_f32_e32 v23, 0x3f4f1bbd, v19
	v_add_f32_e32 v38, v8, v55
	v_add_f32_e32 v20, v24, v25
	v_mad_u32_u24 v25, v47, s6, 0
	v_lshlrev_b32_sdwa v26, v26, v48 dst_sel:DWORD dst_unused:UNUSED_PAD src0_sel:DWORD src1_sel:BYTE_0
	v_sub_f32_e32 v9, v21, v31
	v_fmac_f32_e32 v37, 0x3e9e377a, v4
	v_fmac_f32_e32 v36, 0x3e9e377a, v4
	;; [unrolled: 1-line block ×3, first 2 shown]
	v_sub_f32_e32 v6, v33, v23
	v_add_f32_e32 v24, v21, v31
	v_add_f32_e32 v21, v33, v23
	;; [unrolled: 1-line block ×3, first 2 shown]
	v_add3_u32 v25, v25, v26, v28
	v_sub_f32_e32 v1, v35, v40
	v_sub_f32_e32 v3, v39, v58
	;; [unrolled: 1-line block ×5, first 2 shown]
	v_add_f32_e32 v11, v35, v40
	v_add_f32_e32 v18, v39, v58
	;; [unrolled: 1-line block ×4, first 2 shown]
	ds_write2_b64 v25, v[23:24], v[21:22] offset1:11
	ds_write2_b64 v25, v[19:20], v[17:18] offset0:22 offset1:33
	ds_write2_b64 v25, v[10:11], v[8:9] offset0:44 offset1:55
	;; [unrolled: 1-line block ×4, first 2 shown]
.LBB0_27:
	s_or_b64 exec, exec, s[4:5]
	v_mul_u32_u24_e32 v0, 6, v16
	v_lshlrev_b32_e32 v17, 3, v0
	s_waitcnt lgkmcnt(0)
	s_barrier
	global_load_dwordx4 v[0:3], v17, s[12:13] offset:792
	global_load_dwordx4 v[4:7], v17, s[12:13] offset:808
	;; [unrolled: 1-line block ×3, first 2 shown]
	v_add_u32_e32 v21, 0x800, v30
	ds_read_b64 v[25:26], v29
	ds_read2_b64 v[17:20], v30 offset0:110 offset1:220
	v_add_u32_e32 v28, 0x1000, v30
	ds_read2_b64 v[21:24], v21 offset0:74 offset1:184
	ds_read2_b64 v[31:34], v28 offset0:38 offset1:148
	s_mov_b32 s4, 0xbf5ff5aa
	s_mov_b32 s5, 0x3f3bfb3b
	;; [unrolled: 1-line block ×3, first 2 shown]
	s_waitcnt vmcnt(0) lgkmcnt(0)
	s_barrier
	v_mul_f32_e32 v28, v1, v18
	v_mul_f32_e32 v1, v1, v17
	;; [unrolled: 1-line block ×12, first 2 shown]
	v_fmac_f32_e32 v28, v0, v17
	v_fma_f32 v0, v0, v18, -v1
	v_fmac_f32_e32 v29, v2, v19
	v_fma_f32 v1, v2, v20, -v3
	;; [unrolled: 2-line block ×6, first 2 shown]
	v_add_f32_e32 v6, v28, v38
	v_add_f32_e32 v7, v0, v5
	v_sub_f32_e32 v0, v0, v5
	v_add_f32_e32 v5, v29, v37
	v_add_f32_e32 v9, v1, v4
	v_sub_f32_e32 v1, v1, v4
	;; [unrolled: 3-line block ×4, first 2 shown]
	v_sub_f32_e32 v17, v36, v35
	v_sub_f32_e32 v19, v5, v6
	;; [unrolled: 1-line block ×4, first 2 shown]
	v_add_f32_e32 v22, v2, v1
	v_add_f32_e32 v3, v4, v3
	;; [unrolled: 1-line block ×3, first 2 shown]
	v_sub_f32_e32 v8, v28, v38
	v_sub_f32_e32 v20, v9, v7
	;; [unrolled: 1-line block ×8, first 2 shown]
	v_add_f32_e32 v11, v22, v0
	v_add_f32_e32 v0, v3, v25
	;; [unrolled: 1-line block ×4, first 2 shown]
	v_sub_f32_e32 v17, v8, v17
	v_sub_f32_e32 v10, v10, v8
	v_mul_f32_e32 v6, 0x3f4a47b2, v6
	v_mul_f32_e32 v7, 0x3f4a47b2, v7
	v_mul_f32_e32 v18, 0x3d64c772, v5
	v_mul_f32_e32 v22, 0x3f08b237, v23
	v_mul_f32_e32 v23, 0x3f08b237, v24
	v_mov_b32_e32 v25, v0
	v_mov_b32_e32 v26, v1
	v_add_f32_e32 v8, v21, v8
	v_mul_f32_e32 v21, 0x3d64c772, v9
	v_mul_f32_e32 v24, 0xbf5ff5aa, v10
	;; [unrolled: 1-line block ×3, first 2 shown]
	v_fma_f32 v18, v19, s5, -v18
	v_fma_f32 v19, v19, s6, -v6
	v_fmac_f32_e32 v25, 0xbf955555, v3
	v_fmac_f32_e32 v26, 0xbf955555, v4
	;; [unrolled: 1-line block ×3, first 2 shown]
	v_fma_f32 v3, v20, s6, -v7
	v_fmac_f32_e32 v7, 0x3d64c772, v9
	v_fma_f32 v9, v10, s4, -v22
	v_fmac_f32_e32 v22, 0xbeae86e6, v17
	;; [unrolled: 2-line block ×3, first 2 shown]
	s_mov_b32 s4, 0x3eae86e6
	v_fma_f32 v21, v20, s5, -v21
	v_fma_f32 v17, v17, s4, -v24
	;; [unrolled: 1-line block ×3, first 2 shown]
	v_add_f32_e32 v24, v6, v25
	v_add_f32_e32 v28, v7, v26
	v_fmac_f32_e32 v22, 0xbee1c552, v8
	v_fmac_f32_e32 v23, 0xbee1c552, v11
	v_add_f32_e32 v18, v18, v25
	v_add_f32_e32 v21, v21, v26
	;; [unrolled: 1-line block ×4, first 2 shown]
	v_fmac_f32_e32 v9, 0xbee1c552, v8
	v_fmac_f32_e32 v10, 0xbee1c552, v11
	;; [unrolled: 1-line block ×4, first 2 shown]
	v_add_f32_e32 v2, v23, v24
	v_sub_f32_e32 v3, v28, v22
	v_add_f32_e32 v4, v20, v19
	v_sub_f32_e32 v5, v25, v17
	v_sub_f32_e32 v6, v18, v10
	v_add_f32_e32 v7, v9, v21
	ds_write2_b64 v30, v[0:1], v[2:3] offset1:110
	v_add_u32_e32 v0, 0x400, v30
	v_add_f32_e32 v8, v10, v18
	v_sub_f32_e32 v9, v21, v9
	v_sub_f32_e32 v10, v19, v20
	v_add_f32_e32 v11, v17, v25
	ds_write2_b64 v0, v[4:5], v[6:7] offset0:92 offset1:202
	v_add_u32_e32 v0, 0xc00, v30
	v_sub_f32_e32 v17, v24, v23
	v_add_f32_e32 v18, v22, v28
	ds_write2_b64 v0, v[8:9], v[10:11] offset0:56 offset1:166
	ds_write_b64 v30, v[17:18] offset:5280
	s_waitcnt lgkmcnt(0)
	s_barrier
	s_and_saveexec_b64 s[4:5], s[0:1]
	s_cbranch_execz .LBB0_29
; %bb.28:
	v_mul_lo_u32 v0, s3, v14
	v_mul_lo_u32 v1, s2, v15
	v_mad_u64_u32 v[4:5], s[0:1], s2, v14, 0
	v_mov_b32_e32 v7, s11
	v_lshl_add_u32 v6, v16, 3, v27
	v_add3_u32 v5, v5, v1, v0
	v_lshlrev_b64 v[4:5], 3, v[4:5]
	v_mov_b32_e32 v17, 0
	v_add_co_u32_e32 v8, vcc, s10, v4
	v_addc_co_u32_e32 v7, vcc, v7, v5, vcc
	v_lshlrev_b64 v[4:5], 3, v[12:13]
	ds_read2_b64 v[0:3], v6 offset1:110
	v_add_co_u32_e32 v8, vcc, v8, v4
	v_addc_co_u32_e32 v7, vcc, v7, v5, vcc
	v_lshlrev_b64 v[4:5], 3, v[16:17]
	v_add_co_u32_e32 v4, vcc, v8, v4
	v_addc_co_u32_e32 v5, vcc, v7, v5, vcc
	s_waitcnt lgkmcnt(0)
	global_store_dwordx2 v[4:5], v[0:1], off
	v_add_u32_e32 v0, 0x6e, v16
	v_mov_b32_e32 v1, v17
	v_lshlrev_b64 v[0:1], 3, v[0:1]
	v_add_u32_e32 v4, 0xdc, v16
	v_add_co_u32_e32 v0, vcc, v8, v0
	v_addc_co_u32_e32 v1, vcc, v7, v1, vcc
	global_store_dwordx2 v[0:1], v[2:3], off
	v_add_u32_e32 v0, 0x400, v6
	v_mov_b32_e32 v5, v17
	ds_read2_b64 v[0:3], v0 offset0:92 offset1:202
	v_lshlrev_b64 v[4:5], 3, v[4:5]
	v_add_co_u32_e32 v4, vcc, v8, v4
	v_addc_co_u32_e32 v5, vcc, v7, v5, vcc
	s_waitcnt lgkmcnt(0)
	global_store_dwordx2 v[4:5], v[0:1], off
	v_add_u32_e32 v0, 0x14a, v16
	v_mov_b32_e32 v1, v17
	v_lshlrev_b64 v[0:1], 3, v[0:1]
	v_add_u32_e32 v4, 0x1b8, v16
	v_add_co_u32_e32 v0, vcc, v8, v0
	v_addc_co_u32_e32 v1, vcc, v7, v1, vcc
	global_store_dwordx2 v[0:1], v[2:3], off
	v_add_u32_e32 v0, 0xc00, v6
	v_mov_b32_e32 v5, v17
	ds_read2_b64 v[0:3], v0 offset0:56 offset1:166
	v_lshlrev_b64 v[4:5], 3, v[4:5]
	v_add_co_u32_e32 v4, vcc, v8, v4
	v_addc_co_u32_e32 v5, vcc, v7, v5, vcc
	s_waitcnt lgkmcnt(0)
	global_store_dwordx2 v[4:5], v[0:1], off
	v_add_u32_e32 v0, 0x226, v16
	v_mov_b32_e32 v1, v17
	v_lshlrev_b64 v[0:1], 3, v[0:1]
	v_add_u32_e32 v16, 0x294, v16
	v_add_co_u32_e32 v0, vcc, v8, v0
	v_addc_co_u32_e32 v1, vcc, v7, v1, vcc
	global_store_dwordx2 v[0:1], v[2:3], off
	ds_read_b64 v[0:1], v6 offset:5280
	v_lshlrev_b64 v[2:3], 3, v[16:17]
	v_add_co_u32_e32 v2, vcc, v8, v2
	v_addc_co_u32_e32 v3, vcc, v7, v3, vcc
	s_waitcnt lgkmcnt(0)
	global_store_dwordx2 v[2:3], v[0:1], off
.LBB0_29:
	s_endpgm
	.section	.rodata,"a",@progbits
	.p2align	6, 0x0
	.amdhsa_kernel fft_rtc_back_len770_factors_11_10_7_wgs_220_tpt_110_sp_op_CI_CI_unitstride_sbrr_C2R_dirReg
		.amdhsa_group_segment_fixed_size 0
		.amdhsa_private_segment_fixed_size 0
		.amdhsa_kernarg_size 104
		.amdhsa_user_sgpr_count 6
		.amdhsa_user_sgpr_private_segment_buffer 1
		.amdhsa_user_sgpr_dispatch_ptr 0
		.amdhsa_user_sgpr_queue_ptr 0
		.amdhsa_user_sgpr_kernarg_segment_ptr 1
		.amdhsa_user_sgpr_dispatch_id 0
		.amdhsa_user_sgpr_flat_scratch_init 0
		.amdhsa_user_sgpr_private_segment_size 0
		.amdhsa_uses_dynamic_stack 0
		.amdhsa_system_sgpr_private_segment_wavefront_offset 0
		.amdhsa_system_sgpr_workgroup_id_x 1
		.amdhsa_system_sgpr_workgroup_id_y 0
		.amdhsa_system_sgpr_workgroup_id_z 0
		.amdhsa_system_sgpr_workgroup_info 0
		.amdhsa_system_vgpr_workitem_id 0
		.amdhsa_next_free_vgpr 62
		.amdhsa_next_free_sgpr 28
		.amdhsa_reserve_vcc 1
		.amdhsa_reserve_flat_scratch 0
		.amdhsa_float_round_mode_32 0
		.amdhsa_float_round_mode_16_64 0
		.amdhsa_float_denorm_mode_32 3
		.amdhsa_float_denorm_mode_16_64 3
		.amdhsa_dx10_clamp 1
		.amdhsa_ieee_mode 1
		.amdhsa_fp16_overflow 0
		.amdhsa_exception_fp_ieee_invalid_op 0
		.amdhsa_exception_fp_denorm_src 0
		.amdhsa_exception_fp_ieee_div_zero 0
		.amdhsa_exception_fp_ieee_overflow 0
		.amdhsa_exception_fp_ieee_underflow 0
		.amdhsa_exception_fp_ieee_inexact 0
		.amdhsa_exception_int_div_zero 0
	.end_amdhsa_kernel
	.text
.Lfunc_end0:
	.size	fft_rtc_back_len770_factors_11_10_7_wgs_220_tpt_110_sp_op_CI_CI_unitstride_sbrr_C2R_dirReg, .Lfunc_end0-fft_rtc_back_len770_factors_11_10_7_wgs_220_tpt_110_sp_op_CI_CI_unitstride_sbrr_C2R_dirReg
                                        ; -- End function
	.section	.AMDGPU.csdata,"",@progbits
; Kernel info:
; codeLenInByte = 7044
; NumSgprs: 32
; NumVgprs: 62
; ScratchSize: 0
; MemoryBound: 0
; FloatMode: 240
; IeeeMode: 1
; LDSByteSize: 0 bytes/workgroup (compile time only)
; SGPRBlocks: 3
; VGPRBlocks: 15
; NumSGPRsForWavesPerEU: 32
; NumVGPRsForWavesPerEU: 62
; Occupancy: 4
; WaveLimiterHint : 1
; COMPUTE_PGM_RSRC2:SCRATCH_EN: 0
; COMPUTE_PGM_RSRC2:USER_SGPR: 6
; COMPUTE_PGM_RSRC2:TRAP_HANDLER: 0
; COMPUTE_PGM_RSRC2:TGID_X_EN: 1
; COMPUTE_PGM_RSRC2:TGID_Y_EN: 0
; COMPUTE_PGM_RSRC2:TGID_Z_EN: 0
; COMPUTE_PGM_RSRC2:TIDIG_COMP_CNT: 0
	.type	__hip_cuid_648d0349d8c34e54,@object ; @__hip_cuid_648d0349d8c34e54
	.section	.bss,"aw",@nobits
	.globl	__hip_cuid_648d0349d8c34e54
__hip_cuid_648d0349d8c34e54:
	.byte	0                               ; 0x0
	.size	__hip_cuid_648d0349d8c34e54, 1

	.ident	"AMD clang version 19.0.0git (https://github.com/RadeonOpenCompute/llvm-project roc-6.4.0 25133 c7fe45cf4b819c5991fe208aaa96edf142730f1d)"
	.section	".note.GNU-stack","",@progbits
	.addrsig
	.addrsig_sym __hip_cuid_648d0349d8c34e54
	.amdgpu_metadata
---
amdhsa.kernels:
  - .args:
      - .actual_access:  read_only
        .address_space:  global
        .offset:         0
        .size:           8
        .value_kind:     global_buffer
      - .offset:         8
        .size:           8
        .value_kind:     by_value
      - .actual_access:  read_only
        .address_space:  global
        .offset:         16
        .size:           8
        .value_kind:     global_buffer
      - .actual_access:  read_only
        .address_space:  global
        .offset:         24
        .size:           8
        .value_kind:     global_buffer
      - .actual_access:  read_only
        .address_space:  global
        .offset:         32
        .size:           8
        .value_kind:     global_buffer
      - .offset:         40
        .size:           8
        .value_kind:     by_value
      - .actual_access:  read_only
        .address_space:  global
        .offset:         48
        .size:           8
        .value_kind:     global_buffer
      - .actual_access:  read_only
        .address_space:  global
        .offset:         56
        .size:           8
        .value_kind:     global_buffer
      - .offset:         64
        .size:           4
        .value_kind:     by_value
      - .actual_access:  read_only
        .address_space:  global
        .offset:         72
        .size:           8
        .value_kind:     global_buffer
      - .actual_access:  read_only
        .address_space:  global
        .offset:         80
        .size:           8
        .value_kind:     global_buffer
      - .actual_access:  read_only
        .address_space:  global
        .offset:         88
        .size:           8
        .value_kind:     global_buffer
      - .actual_access:  write_only
        .address_space:  global
        .offset:         96
        .size:           8
        .value_kind:     global_buffer
    .group_segment_fixed_size: 0
    .kernarg_segment_align: 8
    .kernarg_segment_size: 104
    .language:       OpenCL C
    .language_version:
      - 2
      - 0
    .max_flat_workgroup_size: 220
    .name:           fft_rtc_back_len770_factors_11_10_7_wgs_220_tpt_110_sp_op_CI_CI_unitstride_sbrr_C2R_dirReg
    .private_segment_fixed_size: 0
    .sgpr_count:     32
    .sgpr_spill_count: 0
    .symbol:         fft_rtc_back_len770_factors_11_10_7_wgs_220_tpt_110_sp_op_CI_CI_unitstride_sbrr_C2R_dirReg.kd
    .uniform_work_group_size: 1
    .uses_dynamic_stack: false
    .vgpr_count:     62
    .vgpr_spill_count: 0
    .wavefront_size: 64
amdhsa.target:   amdgcn-amd-amdhsa--gfx906
amdhsa.version:
  - 1
  - 2
...

	.end_amdgpu_metadata
